;; amdgpu-corpus repo=ROCm/rocFFT kind=compiled arch=gfx1100 opt=O3
	.text
	.amdgcn_target "amdgcn-amd-amdhsa--gfx1100"
	.amdhsa_code_object_version 6
	.protected	fft_rtc_fwd_len1287_factors_3_13_3_11_wgs_117_tpt_117_half_op_CI_CI_unitstride_sbrr_dirReg ; -- Begin function fft_rtc_fwd_len1287_factors_3_13_3_11_wgs_117_tpt_117_half_op_CI_CI_unitstride_sbrr_dirReg
	.globl	fft_rtc_fwd_len1287_factors_3_13_3_11_wgs_117_tpt_117_half_op_CI_CI_unitstride_sbrr_dirReg
	.p2align	8
	.type	fft_rtc_fwd_len1287_factors_3_13_3_11_wgs_117_tpt_117_half_op_CI_CI_unitstride_sbrr_dirReg,@function
fft_rtc_fwd_len1287_factors_3_13_3_11_wgs_117_tpt_117_half_op_CI_CI_unitstride_sbrr_dirReg: ; @fft_rtc_fwd_len1287_factors_3_13_3_11_wgs_117_tpt_117_half_op_CI_CI_unitstride_sbrr_dirReg
; %bb.0:
	s_clause 0x2
	s_load_b128 s[8:11], s[0:1], 0x0
	s_load_b128 s[4:7], s[0:1], 0x58
	;; [unrolled: 1-line block ×3, first 2 shown]
	v_mul_u32_u24_e32 v1, 0x231, v0
	v_mov_b32_e32 v6, 0
	v_mov_b32_e32 v7, 0
	s_delay_alu instid0(VALU_DEP_3) | instskip(NEXT) | instid1(VALU_DEP_1)
	v_lshrrev_b32_e32 v1, 16, v1
	v_dual_mov_b32 v3, 0 :: v_dual_add_nc_u32 v8, s15, v1
	s_delay_alu instid0(VALU_DEP_1) | instskip(SKIP_2) | instid1(VALU_DEP_1)
	v_mov_b32_e32 v9, v3
	s_waitcnt lgkmcnt(0)
	v_cmp_lt_u64_e64 s2, s[10:11], 2
	s_and_b32 vcc_lo, exec_lo, s2
	s_cbranch_vccnz .LBB0_8
; %bb.1:
	s_load_b64 s[2:3], s[0:1], 0x10
	v_mov_b32_e32 v6, 0
	v_mov_b32_e32 v7, 0
	s_add_u32 s12, s18, 8
	s_addc_u32 s13, s19, 0
	s_add_u32 s14, s16, 8
	s_delay_alu instid0(VALU_DEP_1)
	v_dual_mov_b32 v1, v6 :: v_dual_mov_b32 v2, v7
	s_addc_u32 s15, s17, 0
	s_mov_b64 s[22:23], 1
	s_waitcnt lgkmcnt(0)
	s_add_u32 s20, s2, 8
	s_addc_u32 s21, s3, 0
.LBB0_2:                                ; =>This Inner Loop Header: Depth=1
	s_load_b64 s[24:25], s[20:21], 0x0
	s_waitcnt lgkmcnt(0)
	s_delay_alu instid0(VALU_DEP_1) | instskip(NEXT) | instid1(VALU_DEP_1)
	v_or_b32_e32 v4, s25, v9
	v_cmp_ne_u64_e32 vcc_lo, 0, v[3:4]
                                        ; implicit-def: $vgpr4_vgpr5
	s_and_saveexec_b32 s2, vcc_lo
	s_delay_alu instid0(SALU_CYCLE_1)
	s_xor_b32 s3, exec_lo, s2
	s_cbranch_execz .LBB0_4
; %bb.3:                                ;   in Loop: Header=BB0_2 Depth=1
	v_cvt_f32_u32_e32 v4, s24
	v_cvt_f32_u32_e32 v5, s25
	s_sub_u32 s2, 0, s24
	s_subb_u32 s26, 0, s25
	s_delay_alu instid0(VALU_DEP_1) | instskip(NEXT) | instid1(VALU_DEP_1)
	v_fmac_f32_e32 v4, 0x4f800000, v5
	v_rcp_f32_e32 v4, v4
	s_waitcnt_depctr 0xfff
	v_mul_f32_e32 v4, 0x5f7ffffc, v4
	s_delay_alu instid0(VALU_DEP_1) | instskip(NEXT) | instid1(VALU_DEP_1)
	v_mul_f32_e32 v5, 0x2f800000, v4
	v_trunc_f32_e32 v5, v5
	s_delay_alu instid0(VALU_DEP_1) | instskip(SKIP_1) | instid1(VALU_DEP_2)
	v_fmac_f32_e32 v4, 0xcf800000, v5
	v_cvt_u32_f32_e32 v5, v5
	v_cvt_u32_f32_e32 v4, v4
	s_delay_alu instid0(VALU_DEP_2) | instskip(NEXT) | instid1(VALU_DEP_2)
	v_mul_lo_u32 v10, s2, v5
	v_mul_hi_u32 v11, s2, v4
	v_mul_lo_u32 v12, s26, v4
	s_delay_alu instid0(VALU_DEP_2) | instskip(SKIP_1) | instid1(VALU_DEP_2)
	v_add_nc_u32_e32 v10, v11, v10
	v_mul_lo_u32 v11, s2, v4
	v_add_nc_u32_e32 v10, v10, v12
	s_delay_alu instid0(VALU_DEP_2) | instskip(NEXT) | instid1(VALU_DEP_2)
	v_mul_hi_u32 v12, v4, v11
	v_mul_lo_u32 v13, v4, v10
	v_mul_hi_u32 v14, v4, v10
	v_mul_hi_u32 v15, v5, v11
	v_mul_lo_u32 v11, v5, v11
	v_mul_hi_u32 v16, v5, v10
	v_mul_lo_u32 v10, v5, v10
	v_add_co_u32 v12, vcc_lo, v12, v13
	v_add_co_ci_u32_e32 v13, vcc_lo, 0, v14, vcc_lo
	s_delay_alu instid0(VALU_DEP_2) | instskip(NEXT) | instid1(VALU_DEP_2)
	v_add_co_u32 v11, vcc_lo, v12, v11
	v_add_co_ci_u32_e32 v11, vcc_lo, v13, v15, vcc_lo
	v_add_co_ci_u32_e32 v12, vcc_lo, 0, v16, vcc_lo
	s_delay_alu instid0(VALU_DEP_2) | instskip(NEXT) | instid1(VALU_DEP_2)
	v_add_co_u32 v10, vcc_lo, v11, v10
	v_add_co_ci_u32_e32 v11, vcc_lo, 0, v12, vcc_lo
	s_delay_alu instid0(VALU_DEP_2) | instskip(NEXT) | instid1(VALU_DEP_2)
	v_add_co_u32 v4, vcc_lo, v4, v10
	v_add_co_ci_u32_e32 v5, vcc_lo, v5, v11, vcc_lo
	s_delay_alu instid0(VALU_DEP_2) | instskip(SKIP_1) | instid1(VALU_DEP_3)
	v_mul_hi_u32 v10, s2, v4
	v_mul_lo_u32 v12, s26, v4
	v_mul_lo_u32 v11, s2, v5
	s_delay_alu instid0(VALU_DEP_1) | instskip(SKIP_1) | instid1(VALU_DEP_2)
	v_add_nc_u32_e32 v10, v10, v11
	v_mul_lo_u32 v11, s2, v4
	v_add_nc_u32_e32 v10, v10, v12
	s_delay_alu instid0(VALU_DEP_2) | instskip(NEXT) | instid1(VALU_DEP_2)
	v_mul_hi_u32 v12, v4, v11
	v_mul_lo_u32 v13, v4, v10
	v_mul_hi_u32 v14, v4, v10
	v_mul_hi_u32 v15, v5, v11
	v_mul_lo_u32 v11, v5, v11
	v_mul_hi_u32 v16, v5, v10
	v_mul_lo_u32 v10, v5, v10
	v_add_co_u32 v12, vcc_lo, v12, v13
	v_add_co_ci_u32_e32 v13, vcc_lo, 0, v14, vcc_lo
	s_delay_alu instid0(VALU_DEP_2) | instskip(NEXT) | instid1(VALU_DEP_2)
	v_add_co_u32 v11, vcc_lo, v12, v11
	v_add_co_ci_u32_e32 v11, vcc_lo, v13, v15, vcc_lo
	v_add_co_ci_u32_e32 v12, vcc_lo, 0, v16, vcc_lo
	s_delay_alu instid0(VALU_DEP_2) | instskip(NEXT) | instid1(VALU_DEP_2)
	v_add_co_u32 v10, vcc_lo, v11, v10
	v_add_co_ci_u32_e32 v11, vcc_lo, 0, v12, vcc_lo
	s_delay_alu instid0(VALU_DEP_2) | instskip(NEXT) | instid1(VALU_DEP_2)
	v_add_co_u32 v12, vcc_lo, v4, v10
	v_add_co_ci_u32_e32 v14, vcc_lo, v5, v11, vcc_lo
	s_delay_alu instid0(VALU_DEP_2) | instskip(SKIP_1) | instid1(VALU_DEP_3)
	v_mul_hi_u32 v15, v8, v12
	v_mad_u64_u32 v[10:11], null, v9, v12, 0
	v_mad_u64_u32 v[4:5], null, v8, v14, 0
	;; [unrolled: 1-line block ×3, first 2 shown]
	s_delay_alu instid0(VALU_DEP_2) | instskip(NEXT) | instid1(VALU_DEP_3)
	v_add_co_u32 v4, vcc_lo, v15, v4
	v_add_co_ci_u32_e32 v5, vcc_lo, 0, v5, vcc_lo
	s_delay_alu instid0(VALU_DEP_2) | instskip(NEXT) | instid1(VALU_DEP_2)
	v_add_co_u32 v4, vcc_lo, v4, v10
	v_add_co_ci_u32_e32 v4, vcc_lo, v5, v11, vcc_lo
	v_add_co_ci_u32_e32 v5, vcc_lo, 0, v13, vcc_lo
	s_delay_alu instid0(VALU_DEP_2) | instskip(NEXT) | instid1(VALU_DEP_2)
	v_add_co_u32 v10, vcc_lo, v4, v12
	v_add_co_ci_u32_e32 v11, vcc_lo, 0, v5, vcc_lo
	s_delay_alu instid0(VALU_DEP_2) | instskip(SKIP_1) | instid1(VALU_DEP_3)
	v_mul_lo_u32 v12, s25, v10
	v_mad_u64_u32 v[4:5], null, s24, v10, 0
	v_mul_lo_u32 v13, s24, v11
	s_delay_alu instid0(VALU_DEP_2) | instskip(NEXT) | instid1(VALU_DEP_2)
	v_sub_co_u32 v4, vcc_lo, v8, v4
	v_add3_u32 v5, v5, v13, v12
	s_delay_alu instid0(VALU_DEP_1) | instskip(NEXT) | instid1(VALU_DEP_1)
	v_sub_nc_u32_e32 v12, v9, v5
	v_subrev_co_ci_u32_e64 v12, s2, s25, v12, vcc_lo
	v_add_co_u32 v13, s2, v10, 2
	s_delay_alu instid0(VALU_DEP_1) | instskip(SKIP_3) | instid1(VALU_DEP_3)
	v_add_co_ci_u32_e64 v14, s2, 0, v11, s2
	v_sub_co_u32 v15, s2, v4, s24
	v_sub_co_ci_u32_e32 v5, vcc_lo, v9, v5, vcc_lo
	v_subrev_co_ci_u32_e64 v12, s2, 0, v12, s2
	v_cmp_le_u32_e32 vcc_lo, s24, v15
	s_delay_alu instid0(VALU_DEP_3) | instskip(SKIP_1) | instid1(VALU_DEP_4)
	v_cmp_eq_u32_e64 s2, s25, v5
	v_cndmask_b32_e64 v15, 0, -1, vcc_lo
	v_cmp_le_u32_e32 vcc_lo, s25, v12
	v_cndmask_b32_e64 v16, 0, -1, vcc_lo
	v_cmp_le_u32_e32 vcc_lo, s24, v4
	;; [unrolled: 2-line block ×3, first 2 shown]
	v_cndmask_b32_e64 v17, 0, -1, vcc_lo
	v_cmp_eq_u32_e32 vcc_lo, s25, v12
	s_delay_alu instid0(VALU_DEP_2) | instskip(SKIP_3) | instid1(VALU_DEP_3)
	v_cndmask_b32_e64 v4, v17, v4, s2
	v_cndmask_b32_e32 v12, v16, v15, vcc_lo
	v_add_co_u32 v15, vcc_lo, v10, 1
	v_add_co_ci_u32_e32 v16, vcc_lo, 0, v11, vcc_lo
	v_cmp_ne_u32_e32 vcc_lo, 0, v12
	s_delay_alu instid0(VALU_DEP_2) | instskip(SKIP_1) | instid1(VALU_DEP_2)
	v_dual_cndmask_b32 v5, v16, v14 :: v_dual_cndmask_b32 v12, v15, v13
	v_cmp_ne_u32_e32 vcc_lo, 0, v4
	v_dual_cndmask_b32 v5, v11, v5 :: v_dual_cndmask_b32 v4, v10, v12
.LBB0_4:                                ;   in Loop: Header=BB0_2 Depth=1
	s_and_not1_saveexec_b32 s2, s3
	s_cbranch_execz .LBB0_6
; %bb.5:                                ;   in Loop: Header=BB0_2 Depth=1
	v_cvt_f32_u32_e32 v4, s24
	s_sub_i32 s3, 0, s24
	s_delay_alu instid0(VALU_DEP_1) | instskip(SKIP_2) | instid1(VALU_DEP_1)
	v_rcp_iflag_f32_e32 v4, v4
	s_waitcnt_depctr 0xfff
	v_mul_f32_e32 v4, 0x4f7ffffe, v4
	v_cvt_u32_f32_e32 v4, v4
	s_delay_alu instid0(VALU_DEP_1) | instskip(NEXT) | instid1(VALU_DEP_1)
	v_mul_lo_u32 v5, s3, v4
	v_mul_hi_u32 v5, v4, v5
	s_delay_alu instid0(VALU_DEP_1) | instskip(NEXT) | instid1(VALU_DEP_1)
	v_add_nc_u32_e32 v4, v4, v5
	v_mul_hi_u32 v4, v8, v4
	s_delay_alu instid0(VALU_DEP_1) | instskip(SKIP_1) | instid1(VALU_DEP_2)
	v_mul_lo_u32 v5, v4, s24
	v_add_nc_u32_e32 v10, 1, v4
	v_sub_nc_u32_e32 v5, v8, v5
	s_delay_alu instid0(VALU_DEP_1) | instskip(SKIP_1) | instid1(VALU_DEP_2)
	v_subrev_nc_u32_e32 v11, s24, v5
	v_cmp_le_u32_e32 vcc_lo, s24, v5
	v_dual_cndmask_b32 v5, v5, v11 :: v_dual_cndmask_b32 v4, v4, v10
	s_delay_alu instid0(VALU_DEP_1) | instskip(NEXT) | instid1(VALU_DEP_2)
	v_cmp_le_u32_e32 vcc_lo, s24, v5
	v_dual_mov_b32 v5, v3 :: v_dual_add_nc_u32 v10, 1, v4
	s_delay_alu instid0(VALU_DEP_1)
	v_cndmask_b32_e32 v4, v4, v10, vcc_lo
.LBB0_6:                                ;   in Loop: Header=BB0_2 Depth=1
	s_or_b32 exec_lo, exec_lo, s2
	s_delay_alu instid0(VALU_DEP_1) | instskip(NEXT) | instid1(VALU_DEP_2)
	v_mul_lo_u32 v12, v5, s24
	v_mul_lo_u32 v13, v4, s25
	s_load_b64 s[2:3], s[14:15], 0x0
	v_mad_u64_u32 v[10:11], null, v4, s24, 0
	s_load_b64 s[24:25], s[12:13], 0x0
	s_add_u32 s22, s22, 1
	s_addc_u32 s23, s23, 0
	s_add_u32 s12, s12, 8
	s_addc_u32 s13, s13, 0
	s_add_u32 s14, s14, 8
	s_delay_alu instid0(VALU_DEP_1) | instskip(SKIP_3) | instid1(VALU_DEP_2)
	v_add3_u32 v11, v11, v13, v12
	v_sub_co_u32 v12, vcc_lo, v8, v10
	s_addc_u32 s15, s15, 0
	s_add_u32 s20, s20, 8
	v_sub_co_ci_u32_e32 v10, vcc_lo, v9, v11, vcc_lo
	s_addc_u32 s21, s21, 0
	s_waitcnt lgkmcnt(0)
	s_delay_alu instid0(VALU_DEP_1)
	v_mul_lo_u32 v13, s2, v10
	v_mul_lo_u32 v14, s3, v12
	v_mad_u64_u32 v[8:9], null, s2, v12, v[6:7]
	v_mul_lo_u32 v15, s24, v10
	v_mul_lo_u32 v16, s25, v12
	v_mad_u64_u32 v[10:11], null, s24, v12, v[1:2]
	v_cmp_ge_u64_e64 s2, s[22:23], s[10:11]
	v_add3_u32 v7, v14, v9, v13
	s_delay_alu instid0(VALU_DEP_3) | instskip(NEXT) | instid1(VALU_DEP_4)
	v_dual_mov_b32 v6, v8 :: v_dual_mov_b32 v1, v10
	v_add3_u32 v2, v16, v11, v15
	s_delay_alu instid0(VALU_DEP_4)
	s_and_b32 vcc_lo, exec_lo, s2
	s_cbranch_vccnz .LBB0_9
; %bb.7:                                ;   in Loop: Header=BB0_2 Depth=1
	v_dual_mov_b32 v9, v5 :: v_dual_mov_b32 v8, v4
	s_branch .LBB0_2
.LBB0_8:
	v_dual_mov_b32 v1, v6 :: v_dual_mov_b32 v2, v7
	v_dual_mov_b32 v4, v8 :: v_dual_mov_b32 v5, v9
.LBB0_9:
	s_load_b64 s[0:1], s[0:1], 0x28
	v_mul_hi_u32 v8, 0x2302303, v0
	s_lshl_b64 s[10:11], s[10:11], 3
                                        ; implicit-def: $sgpr12
                                        ; implicit-def: $vgpr18
	s_delay_alu instid0(SALU_CYCLE_1) | instskip(SKIP_4) | instid1(VALU_DEP_1)
	s_add_u32 s2, s18, s10
	s_addc_u32 s3, s19, s11
	s_waitcnt lgkmcnt(0)
	v_cmp_gt_u64_e32 vcc_lo, s[0:1], v[4:5]
	v_cmp_le_u64_e64 s0, s[0:1], v[4:5]
	s_and_saveexec_b32 s1, s0
	s_delay_alu instid0(SALU_CYCLE_1)
	s_xor_b32 s0, exec_lo, s1
; %bb.10:
	v_mul_u32_u24_e32 v3, 0x75, v8
	s_mov_b32 s12, 0
                                        ; implicit-def: $vgpr8
                                        ; implicit-def: $vgpr6_vgpr7
	s_delay_alu instid0(VALU_DEP_1)
	v_sub_nc_u32_e32 v18, v0, v3
                                        ; implicit-def: $vgpr0
; %bb.11:
	s_or_saveexec_b32 s1, s0
	s_load_b64 s[2:3], s[2:3], 0x0
	v_mov_b32_e32 v3, s12
                                        ; implicit-def: $vgpr11
                                        ; implicit-def: $vgpr15
                                        ; implicit-def: $vgpr12
                                        ; implicit-def: $vgpr20
                                        ; implicit-def: $vgpr22
                                        ; implicit-def: $vgpr21
                                        ; implicit-def: $vgpr10
                                        ; implicit-def: $vgpr14
                                        ; implicit-def: $vgpr13
                                        ; implicit-def: $vgpr16
                                        ; implicit-def: $vgpr17
                                        ; implicit-def: $vgpr19
	s_xor_b32 exec_lo, exec_lo, s1
	s_cbranch_execz .LBB0_15
; %bb.12:
	s_add_u32 s10, s16, s10
	s_addc_u32 s11, s17, s11
	v_lshlrev_b64 v[6:7], 2, v[6:7]
	s_load_b64 s[10:11], s[10:11], 0x0
                                        ; implicit-def: $vgpr21
                                        ; implicit-def: $vgpr22
                                        ; implicit-def: $vgpr20
	s_waitcnt lgkmcnt(0)
	v_mul_lo_u32 v3, s11, v4
	v_mul_lo_u32 v11, s10, v5
	v_mad_u64_u32 v[9:10], null, s10, v4, 0
	s_delay_alu instid0(VALU_DEP_1) | instskip(SKIP_1) | instid1(VALU_DEP_2)
	v_add3_u32 v10, v10, v11, v3
	v_mul_u32_u24_e32 v3, 0x75, v8
	v_lshlrev_b64 v[8:9], 2, v[9:10]
	s_delay_alu instid0(VALU_DEP_2) | instskip(NEXT) | instid1(VALU_DEP_2)
	v_sub_nc_u32_e32 v18, v0, v3
	v_add_co_u32 v0, s0, s4, v8
	s_delay_alu instid0(VALU_DEP_1) | instskip(NEXT) | instid1(VALU_DEP_3)
	v_add_co_ci_u32_e64 v3, s0, s5, v9, s0
	v_lshlrev_b32_e32 v8, 2, v18
	s_delay_alu instid0(VALU_DEP_3) | instskip(NEXT) | instid1(VALU_DEP_1)
	v_add_co_u32 v0, s0, v0, v6
	v_add_co_ci_u32_e64 v3, s0, v3, v7, s0
	s_mov_b32 s4, exec_lo
	s_delay_alu instid0(VALU_DEP_2) | instskip(NEXT) | instid1(VALU_DEP_1)
	v_add_co_u32 v6, s0, v0, v8
	v_add_co_ci_u32_e64 v7, s0, 0, v3, s0
	s_clause 0x3
	global_load_b32 v11, v[6:7], off
	global_load_b32 v10, v[6:7], off offset:468
	global_load_b32 v14, v[6:7], off offset:2184
	;; [unrolled: 1-line block ×3, first 2 shown]
	v_add_co_u32 v8, s0, 0x1000, v6
	s_delay_alu instid0(VALU_DEP_1)
	v_add_co_ci_u32_e64 v9, s0, 0, v7, s0
	s_clause 0x4
	global_load_b32 v12, v[6:7], off offset:3432
	global_load_b32 v17, v[6:7], off offset:2652
	global_load_b32 v15, v[6:7], off offset:1716
	global_load_b32 v19, v[6:7], off offset:936
	global_load_b32 v16, v[8:9], off offset:272
	v_cmpx_gt_u32_e32 0x4e, v18
; %bb.13:
	s_clause 0x2
	global_load_b32 v21, v[6:7], off offset:1404
	global_load_b32 v22, v[6:7], off offset:3120
	;; [unrolled: 1-line block ×3, first 2 shown]
; %bb.14:
	s_or_b32 exec_lo, exec_lo, s4
	v_mov_b32_e32 v3, v18
.LBB0_15:
	s_or_b32 exec_lo, exec_lo, s1
	s_waitcnt vmcnt(0)
	v_pk_add_f16 v6, v22, v20 neg_lo:[0,1] neg_hi:[0,1]
	v_pk_add_f16 v0, v20, v22
	v_pk_add_f16 v8, v15, v12
	;; [unrolled: 1-line block ×4, first 2 shown]
	v_pk_mul_f16 v23, 0x3aee, v6 op_sel_hi:[0,1]
	v_pk_add_f16 v6, v15, v12 neg_lo:[0,1] neg_hi:[0,1]
	v_pk_fma_f16 v9, v0, 0.5, v21 op_sel_hi:[1,0,1] neg_lo:[1,0,0] neg_hi:[1,0,0]
	v_pk_add_f16 v15, v22, v21
	v_pk_fma_f16 v22, v8, 0.5, v11 op_sel_hi:[1,0,1] neg_lo:[1,0,0] neg_hi:[1,0,0]
	v_mad_u32_u24 v0, v18, 12, 0
	v_pk_mul_f16 v24, 0x3aee, v6 op_sel_hi:[0,1]
	v_pk_add_f16 v8, v23, v9 op_sel:[1,0] op_sel_hi:[0,1]
	v_pk_add_f16 v11, v20, v15
	v_pk_add_f16 v21, v9, v23 op_sel:[0,1] op_sel_hi:[1,0] neg_lo:[0,1] neg_hi:[0,1]
	v_pk_add_f16 v9, v14, v13
	v_pk_add_f16 v15, v14, v13 neg_lo:[0,1] neg_hi:[0,1]
	v_pk_add_f16 v6, v7, v12
	v_pk_add_f16 v12, v22, v24 op_sel:[0,1] op_sel_hi:[1,0] neg_lo:[0,1] neg_hi:[0,1]
	v_pk_add_f16 v7, v22, v24 op_sel:[0,1] op_sel_hi:[1,0]
	v_pk_add_f16 v22, v16, v17
	v_pk_add_f16 v23, v17, v16 neg_lo:[0,1] neg_hi:[0,1]
	v_pk_fma_f16 v9, v9, 0.5, v10 op_sel_hi:[1,0,1] neg_lo:[1,0,0] neg_hi:[1,0,0]
	v_pk_mul_f16 v24, 0x3aee, v15 op_sel_hi:[0,1]
	v_add_nc_u32_e32 v25, 0x57c, v0
	v_pk_fma_f16 v22, v22, 0.5, v19 op_sel_hi:[1,0,1] neg_lo:[1,0,0] neg_hi:[1,0,0]
	v_pk_mul_f16 v23, 0x3aee, v23 op_sel_hi:[0,1]
	v_pk_add_f16 v13, v26, v13
	v_pk_add_f16 v15, v9, v24 op_sel:[0,1] op_sel_hi:[1,0] neg_lo:[0,1] neg_hi:[0,1]
	v_pk_add_f16 v14, v9, v24 op_sel:[0,1] op_sel_hi:[1,0]
	v_pk_add_f16 v9, v17, v19
	v_pk_add_f16 v10, v22, v23 op_sel:[0,1] op_sel_hi:[1,0] neg_lo:[0,1] neg_hi:[0,1]
	v_pk_add_f16 v17, v22, v23 op_sel:[0,1] op_sel_hi:[1,0]
	v_add_nc_u32_e32 v22, 0xaf8, v0
	v_bfi_b32 v19, 0xffff, v14, v15
	v_pk_add_f16 v16, v16, v9
	v_lshrrev_b32_e32 v20, 16, v8
	v_bfi_b32 v9, 0xffff, v17, v10
	v_bfi_b32 v23, 0xffff, v7, v12
	v_cmp_gt_u32_e64 s0, 0x4e, v18
	v_bfi_b32 v24, 0xffff, v12, v7
	v_bfi_b32 v26, 0xffff, v15, v14
	ds_store_2addr_b32 v25, v13, v19 offset1:1
	ds_store_2addr_b32 v22, v16, v9 offset1:1
	v_bfi_b32 v9, 0xffff, v10, v17
	ds_store_2addr_b32 v0, v6, v23 offset1:1
	ds_store_b32 v0, v24 offset:8
	ds_store_b32 v0, v26 offset:1412
	;; [unrolled: 1-line block ×3, first 2 shown]
	s_and_saveexec_b32 s1, s0
	s_cbranch_execz .LBB0_17
; %bb.16:
	v_add_nc_u32_e32 v9, 0x1078, v0
	v_bfi_b32 v19, 0xffff, v8, v21
	v_perm_b32 v22, v20, v21, 0x5040100
	ds_store_b32 v0, v11 offset:4212
	ds_store_2addr_b32 v9, v19, v22 offset1:1
.LBB0_17:
	s_or_b32 exec_lo, exec_lo, s1
	v_lshrrev_b32_e32 v28, 16, v7
	v_lshrrev_b32_e32 v30, 16, v14
	;; [unrolled: 1-line block ×3, first 2 shown]
	v_cmp_gt_u32_e64 s1, 0x63, v18
	v_lshrrev_b32_e32 v34, 16, v12
	v_lshrrev_b32_e32 v41, 16, v13
	;; [unrolled: 1-line block ×5, first 2 shown]
	s_waitcnt lgkmcnt(0)
	s_barrier
	buffer_gl0_inv
                                        ; implicit-def: $vgpr26
                                        ; implicit-def: $vgpr25
	s_and_saveexec_b32 s4, s1
	s_cbranch_execz .LBB0_19
; %bb.18:
	v_lshlrev_b32_e32 v6, 3, v18
	s_delay_alu instid0(VALU_DEP_1) | instskip(NEXT) | instid1(VALU_DEP_1)
	v_sub_nc_u32_e32 v0, v0, v6
	v_add_nc_u32_e32 v8, 0xc00, v0
	v_add_nc_u32_e32 v9, 0xe00, v0
	;; [unrolled: 1-line block ×4, first 2 shown]
	ds_load_2addr_b32 v[6:7], v0 offset1:99
	ds_load_b32 v25, v0 offset:4752
	v_add_nc_u32_e32 v0, 0x800, v0
	ds_load_2addr_b32 v[10:11], v8 offset0:24 offset1:123
	ds_load_2addr_b32 v[8:9], v9 offset0:94 offset1:193
	;; [unrolled: 1-line block ×5, first 2 shown]
	s_waitcnt lgkmcnt(4)
	v_lshrrev_b32_e32 v24, 16, v10
	v_lshrrev_b32_e32 v34, 16, v7
	;; [unrolled: 1-line block ×3, first 2 shown]
	s_waitcnt lgkmcnt(3)
	v_lshrrev_b32_e32 v20, 16, v9
	s_waitcnt lgkmcnt(2)
	v_lshrrev_b32_e32 v28, 16, v12
	v_lshrrev_b32_e32 v41, 16, v13
	s_waitcnt lgkmcnt(1)
	v_lshrrev_b32_e32 v42, 16, v14
	;; [unrolled: 3-line block ×3, first 2 shown]
	v_lshrrev_b32_e32 v44, 16, v17
	v_bfi_b32 v21, 0xffff, v9, v8
.LBB0_19:
	s_or_b32 exec_lo, exec_lo, s4
	v_and_b32_e32 v0, 0xff, v18
	v_lshrrev_b32_e32 v64, 16, v11
	s_delay_alu instid0(VALU_DEP_3) | instskip(NEXT) | instid1(VALU_DEP_3)
	v_lshrrev_b32_e32 v65, 16, v21
	v_mul_lo_u16 v9, 0xab, v0
	s_delay_alu instid0(VALU_DEP_1) | instskip(NEXT) | instid1(VALU_DEP_1)
	v_lshrrev_b16 v19, 9, v9
	v_mul_lo_u16 v9, v19, 3
	s_delay_alu instid0(VALU_DEP_1) | instskip(NEXT) | instid1(VALU_DEP_1)
	v_sub_nc_u16 v9, v18, v9
	v_and_b32_e32 v9, 0xff, v9
	s_delay_alu instid0(VALU_DEP_1) | instskip(NEXT) | instid1(VALU_DEP_1)
	v_mul_u32_u24_e32 v22, 12, v9
	v_lshlrev_b32_e32 v22, 2, v22
	s_clause 0x2
	global_load_b128 v[52:55], v22, s[8:9]
	global_load_b128 v[56:59], v22, s[8:9] offset:16
	global_load_b128 v[60:63], v22, s[8:9] offset:32
	v_lshrrev_b32_e32 v22, 16, v6
	s_waitcnt vmcnt(0)
	s_barrier
	buffer_gl0_inv
	v_lshrrev_b32_e32 v23, 16, v52
	v_lshrrev_b32_e32 v27, 16, v53
	v_lshrrev_b32_e32 v50, 16, v63
	v_lshrrev_b32_e32 v29, 16, v54
	v_lshrrev_b32_e32 v33, 16, v57
	v_lshrrev_b32_e32 v45, 16, v58
	v_lshrrev_b32_e32 v49, 16, v62
	v_mul_f16_e32 v51, v34, v23
	v_mul_f16_e32 v40, v7, v23
	;; [unrolled: 1-line block ×4, first 2 shown]
	v_lshrrev_b32_e32 v31, 16, v55
	v_lshrrev_b32_e32 v47, 16, v60
	;; [unrolled: 1-line block ×3, first 2 shown]
	v_mul_f16_e32 v66, v28, v27
	v_mul_f16_e32 v39, v12, v27
	;; [unrolled: 1-line block ×9, first 2 shown]
	v_fma_f16 v51, v7, v52, -v51
	v_fmac_f16_e32 v40, v34, v52
	v_fma_f16 v34, v25, v63, -v76
	v_fmac_f16_e32 v23, v26, v63
	v_lshrrev_b32_e32 v32, 16, v56
	v_lshrrev_b32_e32 v46, 16, v59
	v_mul_f16_e32 v67, v41, v29
	v_mul_f16_e32 v68, v42, v31
	;; [unrolled: 1-line block ×7, first 2 shown]
	v_fma_f16 v50, v12, v53, -v66
	v_fmac_f16_e32 v39, v28, v53
	v_fmac_f16_e32 v38, v41, v54
	v_fma_f16 v45, v17, v58, -v71
	v_fmac_f16_e32 v33, v44, v58
	v_fma_f16 v41, v21, v62, -v75
	v_fmac_f16_e32 v27, v20, v62
	v_sub_f16_e32 v58, v51, v34
	v_sub_f16_e32 v52, v40, v23
	v_mul_f16_e32 v69, v30, v32
	v_mul_f16_e32 v72, v24, v46
	v_fma_f16 v49, v13, v54, -v67
	v_fmac_f16_e32 v37, v42, v55
	v_fmac_f16_e32 v35, v43, v57
	v_fma_f16 v43, v11, v60, -v73
	v_fmac_f16_e32 v31, v64, v60
	v_fma_f16 v42, v8, v61, -v74
	v_fmac_f16_e32 v29, v65, v61
	v_add_f16_e32 v7, v51, v34
	v_add_f16_e32 v11, v40, v23
	v_sub_f16_e32 v60, v50, v41
	v_sub_f16_e32 v53, v39, v27
	v_mul_f16_e32 v73, 0xba95, v52
	v_mul_f16_e32 v91, 0xba95, v58
	;; [unrolled: 1-line block ×8, first 2 shown]
	v_fma_f16 v48, v14, v55, -v68
	v_fma_f16 v47, v15, v56, -v69
	;; [unrolled: 1-line block ×4, first 2 shown]
	v_add_f16_e32 v8, v50, v41
	v_add_f16_e32 v10, v39, v27
	v_sub_f16_e32 v61, v49, v42
	v_sub_f16_e32 v55, v38, v29
	v_mul_f16_e32 v71, 0xbb7b, v53
	v_mul_f16_e32 v90, 0xbb7b, v60
	;; [unrolled: 1-line block ×6, first 2 shown]
	v_fmamk_f16 v14, v7, 0x388b, v73
	v_fma_f16 v15, v11, 0x388b, -v91
	v_fmamk_f16 v16, v7, 0x2fb7, v96
	v_fma_f16 v17, v11, 0x2fb7, -v100
	;; [unrolled: 2-line block ×3, first 2 shown]
	v_fmac_f16_e32 v36, v30, v56
	v_fmac_f16_e32 v32, v24, v59
	v_add_f16_e32 v12, v49, v42
	v_add_f16_e32 v13, v38, v29
	v_sub_f16_e32 v63, v48, v43
	v_sub_f16_e32 v56, v37, v31
	v_mul_f16_e32 v69, 0xb3a8, v55
	v_mul_f16_e32 v82, 0xb3a8, v61
	v_mul_f16_e32 v94, 0x3b7b, v55
	v_mul_f16_e32 v99, 0x3b7b, v61
	v_mul_f16_e32 v105, 0x3770, v55
	v_mul_f16_e32 v110, 0x3770, v61
	v_fmamk_f16 v21, v8, 0xb5ac, v71
	v_fma_f16 v70, v10, 0xb5ac, -v90
	v_fmamk_f16 v74, v8, 0xbbc4, v95
	v_fma_f16 v77, v10, 0xbbc4, -v101
	v_fmamk_f16 v78, v8, 0xb9fd, v107
	v_fma_f16 v79, v10, 0xb9fd, -v113
	v_add_f16_e32 v14, v6, v14
	v_add_f16_e32 v15, v22, v15
	v_add_f16_e32 v16, v6, v16
	v_add_f16_e32 v17, v22, v17
	v_add_f16_e32 v20, v6, v20
	v_add_f16_e32 v66, v22, v66
	v_add_f16_e32 v24, v48, v43
	v_add_f16_e32 v25, v37, v31
	v_sub_f16_e32 v62, v47, v44
	v_sub_f16_e32 v57, v36, v32
	v_mul_f16_e32 v68, 0x394e, v56
	v_mul_f16_e32 v76, 0x394e, v63
	v_mul_f16_e32 v92, 0x3770, v56
	v_mul_f16_e32 v98, 0x3770, v63
	v_mul_f16_e32 v104, 0xbbf1, v56
	v_mul_f16_e32 v111, 0xbbf1, v63
	v_fmamk_f16 v80, v12, 0xbbc4, v69
	v_fma_f16 v83, v13, 0xbbc4, -v82
	v_fmamk_f16 v84, v12, 0xb5ac, v94
	v_fma_f16 v85, v13, 0xb5ac, -v99
	v_fmamk_f16 v86, v12, 0x3b15, v105
	v_fma_f16 v87, v13, 0x3b15, -v110
	v_add_f16_e32 v14, v21, v14
	v_add_f16_e32 v15, v70, v15
	v_add_f16_e32 v16, v74, v16
	v_add_f16_e32 v17, v77, v17
	v_add_f16_e32 v20, v78, v20
	v_add_f16_e32 v21, v79, v66
	;; [unrolled: 22-line block ×3, first 2 shown]
	v_add_f16_e32 v30, v46, v45
	v_add_f16_e32 v54, v35, v33
	v_mul_f16_e32 v65, 0x3770, v59
	v_mul_f16_e32 v72, 0x3770, v64
	;; [unrolled: 1-line block ×6, first 2 shown]
	v_fmamk_f16 v119, v26, 0x2fb7, v67
	v_fma_f16 v120, v28, 0x2fb7, -v75
	v_fmamk_f16 v121, v26, 0x388b, v89
	v_fma_f16 v122, v28, 0x388b, -v97
	;; [unrolled: 2-line block ×3, first 2 shown]
	v_add_f16_e32 v14, v88, v14
	v_add_f16_e32 v15, v114, v15
	;; [unrolled: 1-line block ×6, first 2 shown]
	v_fmamk_f16 v125, v30, 0x3b15, v65
	v_fma_f16 v126, v54, 0x3b15, -v72
	v_fmamk_f16 v127, v30, 0xb9fd, v81
	v_fma_f16 v128, v54, 0xb9fd, -v93
	v_fma_f16 v129, 0x388b, v30, v102
	v_fma_f16 v130, v54, 0x388b, -v108
	v_add_f16_e32 v14, v119, v14
	v_add_f16_e32 v15, v120, v15
	;; [unrolled: 1-line block ×9, first 2 shown]
	v_add_f16_e64 v21, v128, v70
	v_add_f16_e64 v14, v129, v74
	;; [unrolled: 1-line block ×3, first 2 shown]
	s_and_saveexec_b32 s4, s1
	s_cbranch_execz .LBB0_21
; %bb.20:
	v_mul_f16_e32 v87, 0xb3a8, v58
	v_mul_f16_e32 v84, 0x3770, v60
	v_mul_f16_e32 v77, 0xb94e, v61
	v_mul_f16_e32 v86, 0xb3a8, v52
	v_mul_f16_e32 v74, 0x3a95, v63
	v_fmamk_f16 v78, v11, 0xbbc4, v87
	v_fmamk_f16 v83, v10, 0x3b15, v84
	v_mul_f16_e32 v80, 0x3770, v53
	v_fma_f16 v88, v7, 0xbbc4, -v86
	v_fmamk_f16 v114, v13, 0xb9fd, v77
	v_add_f16_e32 v85, v22, v78
	v_mul_f16_e32 v116, 0xb94e, v58
	v_mul_f16_e32 v78, 0xb94e, v55
	v_fma_f16 v115, v8, 0x3b15, -v80
	v_add_f16_e32 v88, v6, v88
	v_add_f16_e32 v85, v83, v85
	v_fmamk_f16 v117, v25, 0x388b, v74
	v_fmamk_f16 v118, v11, 0xb9fd, v116
	v_mul_f16_e32 v119, 0x3bf1, v60
	v_mul_f16_e32 v70, 0xbb7b, v62
	v_add_f16_e32 v85, v114, v85
	v_mul_f16_e32 v79, 0x3a95, v56
	v_fma_f16 v114, v12, 0xb9fd, -v78
	v_add_f16_e32 v88, v115, v88
	v_mul_f16_e32 v120, 0xba95, v61
	v_add_f16_e32 v85, v117, v85
	v_add_f16_e32 v117, v22, v118
	v_fmamk_f16 v118, v10, 0x2fb7, v119
	v_mul_f16_e32 v66, 0x3bf1, v64
	v_mul_f16_e32 v83, 0xbb7b, v57
	v_fmamk_f16 v115, v28, 0xb5ac, v70
	v_fma_f16 v121, v24, 0x388b, -v79
	v_add_f16_e32 v88, v114, v88
	v_add_f16_e32 v117, v118, v117
	v_fmamk_f16 v118, v13, 0x388b, v120
	v_mul_f16_e32 v122, 0x33a8, v63
	v_fmamk_f16 v114, v54, 0x2fb7, v66
	v_add_f16_e32 v88, v121, v88
	v_fma_f16 v121, v26, 0xb5ac, -v83
	v_mul_f16_e32 v123, 0x3bf1, v59
	v_add_f16_e32 v117, v118, v117
	v_fmamk_f16 v118, v25, 0xbbc4, v122
	v_mul_f16_e32 v124, 0x3770, v62
	v_add_f16_e32 v85, v115, v85
	v_add_f16_e32 v88, v121, v88
	v_fma_f16 v115, v30, 0x2fb7, -v123
	v_add_f16_e32 v117, v118, v117
	v_fmamk_f16 v118, v28, 0x3b15, v124
	v_mul_f16_e32 v121, 0xb94e, v52
	v_add_f16_e32 v85, v114, v85
	v_mul_f16_e32 v114, 0xb5ac, v11
	v_add_f16_e32 v88, v115, v88
	v_add_f16_e32 v115, v118, v117
	v_fma_f16 v117, v7, 0xb9fd, -v121
	v_mul_f16_e32 v118, 0x3bf1, v53
	v_mul_f16_e32 v125, 0xb9fd, v10
	v_add_f16_e32 v112, v112, v114
	v_mul_f16_e32 v114, 0xbb7b, v64
	v_add_f16_e32 v117, v6, v117
	v_fma_f16 v126, v8, 0x2fb7, -v118
	v_add_f16_e32 v113, v113, v125
	v_add_f16_e32 v112, v22, v112
	v_mul_f16_e32 v125, 0xba95, v55
	v_mul_f16_e64 v128, 0x3b15, v13
	v_add_f16_e32 v117, v126, v117
	v_mul_f16_e32 v126, 0x33a8, v56
	v_add_f16_e32 v112, v113, v112
	v_fma_f16 v113, v12, 0x388b, -v125
	v_fmamk_f16 v127, v54, 0xb5ac, v114
	v_add_f16_e64 v110, v110, v128
	v_mul_f16_e64 v128, 0x2fb7, v25
	v_add_f16_e32 v40, v22, v40
	v_add_f16_e32 v113, v113, v117
	v_fma_f16 v117, v24, 0xbbc4, -v126
	v_add_f16_e32 v115, v127, v115
	v_add_f16_e32 v110, v110, v112
	v_add_f16_e64 v111, v111, v128
	v_mul_f16_e32 v112, 0xb5ac, v7
	v_mul_f16_e32 v127, 0x3770, v57
	v_add_f16_e32 v113, v117, v113
	v_mul_f16_e32 v117, 0xbbc4, v28
	v_mul_f16_e64 v128, 0xb9fd, v8
	v_sub_f16_e32 v106, v112, v106
	v_fma_f16 v112, v26, 0x3b15, -v127
	v_add_f16_e32 v110, v111, v110
	v_add_f16_e32 v109, v109, v117
	v_sub_f16_e64 v107, v128, v107
	v_add_f16_e32 v106, v6, v106
	v_add_f16_e32 v111, v112, v113
	v_mul_f16_e32 v112, 0x3b15, v12
	v_add_f16_e32 v109, v109, v110
	v_mul_f16_e32 v110, 0x2fb7, v11
	v_mul_f16_e32 v113, 0x388b, v54
	v_add_f16_e32 v106, v107, v106
	v_sub_f16_e32 v105, v112, v105
	v_mul_f16_e32 v112, 0x2fb7, v24
	v_mul_f16_e32 v117, 0xbbc4, v10
	v_add_f16_e32 v100, v100, v110
	v_add_f16_e32 v108, v108, v113
	;; [unrolled: 1-line block ×3, first 2 shown]
	v_sub_f16_e32 v104, v112, v104
	v_add_f16_e32 v101, v101, v117
	v_mul_f16_e32 v110, 0xbbc4, v26
	v_add_f16_e32 v100, v22, v100
	v_add_f16_e32 v39, v40, v39
	;; [unrolled: 1-line block ×3, first 2 shown]
	v_mul_f16_e32 v109, 0xb5ac, v13
	v_add_f16_e32 v104, v104, v105
	v_sub_f16_e32 v103, v110, v103
	v_add_f16_e32 v100, v101, v100
	v_mul_f16_e32 v101, 0x388b, v30
	v_add_f16_e32 v38, v39, v38
	v_add_f16_e32 v99, v99, v109
	;; [unrolled: 1-line block ×3, first 2 shown]
	v_mul_f16_e32 v104, 0x2fb7, v7
	v_sub_f16_e32 v101, v101, v102
	v_mul_f16_e32 v102, 0x3b15, v25
	v_add_f16_e32 v37, v38, v37
	v_add_f16_e32 v99, v99, v100
	v_mul_f16_e32 v100, 0xbbc4, v8
	v_sub_f16_e32 v96, v104, v96
	v_mul_f16_e32 v104, 0x388b, v11
	v_add_f16_e32 v98, v98, v102
	v_mul_f16_e32 v102, 0x388b, v28
	v_add_f16_e32 v36, v37, v36
	v_sub_f16_e32 v95, v100, v95
	v_add_f16_e32 v96, v6, v96
	v_add_f16_e32 v98, v98, v99
	v_mul_f16_e32 v99, 0xb5ac, v12
	v_add_f16_e32 v97, v97, v102
	v_mul_f16_e32 v102, 0xb5ac, v10
	v_add_f16_e32 v91, v91, v104
	v_add_f16_e32 v51, v6, v51
	;; [unrolled: 1-line block ×4, first 2 shown]
	v_sub_f16_e32 v94, v99, v94
	v_mul_f16_e32 v99, 0xbbc4, v13
	v_add_f16_e32 v90, v90, v102
	v_add_f16_e32 v91, v22, v91
	;; [unrolled: 1-line block ×4, first 2 shown]
	v_mul_f16_e32 v105, 0x388b, v7
	v_add_f16_e32 v94, v94, v95
	v_mul_f16_e32 v95, 0xb9fd, v25
	v_add_f16_e32 v90, v90, v91
	v_add_f16_e32 v82, v82, v99
	;; [unrolled: 1-line block ×3, first 2 shown]
	v_fma_f16 v35, v11, 0xbbc4, -v87
	v_add_f16_e32 v32, v33, v32
	v_mul_f16_e32 v100, 0xb5ac, v8
	v_mul_f16_e32 v102, 0x2fb7, v28
	v_sub_f16_e32 v73, v105, v73
	v_add_f16_e32 v82, v82, v90
	v_add_f16_e32 v76, v76, v95
	v_mul_f16_e32 v52, 0xb770, v52
	v_add_f16_e32 v48, v49, v48
	v_add_f16_e32 v33, v22, v35
	v_fma_f16 v35, v10, 0x3b15, -v84
	v_add_f16_e32 v31, v32, v31
	v_mul_f16_e32 v96, 0xbbc4, v12
	v_add_f16_e32 v73, v6, v73
	v_sub_f16_e32 v71, v100, v71
	v_add_f16_e32 v76, v76, v82
	v_add_f16_e32 v75, v75, v102
	v_mul_f16_e32 v58, 0xb770, v58
	v_fma_f16 v50, v7, 0x3b15, -v52
	v_mul_f16_e32 v53, 0xba95, v53
	v_add_f16_e32 v47, v48, v47
	v_add_f16_e32 v32, v35, v33
	v_fma_f16 v33, v13, 0xb9fd, -v77
	v_add_f16_e32 v29, v31, v29
	v_add_f16_e32 v101, v101, v103
	v_mul_f16_e32 v103, 0xb9fd, v24
	v_add_f16_e32 v97, v97, v98
	v_mul_f16_e32 v98, 0x3b15, v24
	v_mul_f16_e32 v91, 0x3b15, v54
	v_add_f16_e32 v71, v71, v73
	v_sub_f16_e32 v69, v96, v69
	v_add_f16_e32 v75, v75, v76
	v_fmamk_f16 v76, v11, 0x3b15, v58
	v_mul_f16_e32 v60, 0xba95, v60
	v_add_f16_e32 v40, v6, v50
	v_fma_f16 v49, v8, 0x388b, -v53
	v_mul_f16_e32 v50, 0xbbf1, v55
	v_add_f16_e32 v46, v47, v46
	v_add_f16_e32 v32, v33, v32
	v_fma_f16 v33, v25, 0x388b, -v74
	v_add_f16_e32 v27, v29, v27
	v_fma_f16 v29, v11, 0xb9fd, -v116
	v_sub_f16_e32 v92, v98, v92
	v_mul_f16_e32 v98, 0x2fb7, v26
	v_add_f16_e32 v69, v69, v71
	v_sub_f16_e32 v68, v103, v68
	v_add_f16_e32 v71, v72, v91
	v_add_f16_e32 v72, v22, v76
	v_fmamk_f16 v76, v10, 0x388b, v60
	v_mul_f16_e32 v61, 0xbbf1, v61
	v_add_f16_e32 v40, v49, v40
	v_fma_f16 v48, v12, 0x2fb7, -v50
	v_mul_f16_e32 v38, 0xbb7b, v56
	v_add_f16_e32 v45, v46, v45
	v_fmac_f16_e32 v86, 0xbbc4, v7
	v_add_f16_e32 v32, v33, v32
	v_fma_f16 v33, v28, 0xb5ac, -v70
	v_add_f16_e32 v29, v22, v29
	v_fma_f16 v35, v10, 0x2fb7, -v119
	v_fmac_f16_e32 v121, 0xb9fd, v7
	v_fma_f16 v11, v11, 0x3b15, -v58
	v_fmac_f16_e32 v52, 0x3b15, v7
	v_add_f16_e32 v92, v92, v94
	v_mul_f16_e32 v94, 0x3b15, v30
	v_add_f16_e32 v68, v68, v69
	v_sub_f16_e32 v67, v98, v67
	v_add_f16_e32 v69, v71, v75
	v_add_f16_e32 v71, v76, v72
	v_fmamk_f16 v72, v13, 0x2fb7, v61
	v_mul_f16_e32 v63, 0xbb7b, v63
	v_add_f16_e32 v40, v48, v40
	v_fma_f16 v37, v24, 0xb5ac, -v38
	v_mul_f16_e32 v46, 0xb94e, v57
	v_add_f16_e32 v44, v45, v44
	v_mul_f16_e32 v104, 0xb9fd, v54
	v_add_f16_e32 v31, v6, v86
	v_fmac_f16_e32 v80, 0x3b15, v8
	v_add_f16_e32 v23, v27, v23
	v_add_f16_e32 v27, v33, v32
	;; [unrolled: 1-line block ×3, first 2 shown]
	v_fma_f16 v33, v54, 0x2fb7, -v66
	v_add_f16_e32 v35, v6, v121
	v_fmac_f16_e32 v118, 0x2fb7, v8
	v_add_f16_e32 v11, v22, v11
	v_fma_f16 v10, v10, 0x388b, -v60
	v_add_f16_e32 v6, v6, v52
	v_fmac_f16_e32 v53, 0x388b, v8
	v_add_f16_e32 v67, v67, v68
	v_sub_f16_e32 v65, v94, v65
	v_add_f16_e32 v68, v72, v71
	v_fmamk_f16 v71, v25, 0xb5ac, v63
	v_mul_f16_e32 v62, 0xb94e, v62
	v_add_f16_e32 v36, v37, v40
	v_fma_f16 v37, v26, 0xb9fd, -v46
	v_mul_f16_e32 v40, 0xb3a8, v59
	v_add_f16_e32 v43, v44, v43
	v_add_f16_e32 v93, v93, v104
	v_mul_f16_e32 v104, 0x388b, v26
	v_add_f16_e32 v31, v80, v31
	v_fmac_f16_e32 v78, 0xb9fd, v12
	v_fma_f16 v32, v13, 0x388b, -v120
	v_add_f16_e32 v27, v33, v27
	v_add_f16_e32 v33, v118, v35
	v_fmac_f16_e32 v125, 0x388b, v12
	v_add_f16_e32 v8, v10, v11
	v_fma_f16 v10, v13, 0x2fb7, -v61
	v_add_f16_e32 v6, v53, v6
	v_fmac_f16_e32 v50, 0x2fb7, v12
	v_add_f16_e32 v51, v65, v67
	v_add_f16_e32 v65, v71, v68
	v_fmamk_f16 v67, v28, 0xb9fd, v62
	v_mul_f16_e32 v39, 0xb3a8, v64
	v_add_f16_e32 v36, v37, v36
	v_fma_f16 v37, v30, 0xbbc4, -v40
	v_add_f16_e32 v42, v43, v42
	v_mul_f16_e32 v99, 0xb9fd, v30
	v_sub_f16_e32 v89, v104, v89
	v_add_f16_e32 v31, v78, v31
	v_fmac_f16_e32 v79, 0x388b, v24
	v_add_f16_e32 v29, v32, v29
	v_fma_f16 v32, v25, 0xbbc4, -v122
	v_add_f16_e32 v7, v125, v33
	v_fmac_f16_e32 v126, 0xbbc4, v24
	v_add_f16_e32 v8, v10, v8
	v_fma_f16 v10, v25, 0xb5ac, -v63
	v_add_f16_e32 v6, v50, v6
	v_fmac_f16_e32 v38, 0xb5ac, v24
	v_mul_f16_e32 v107, 0xbb7b, v59
	v_add_f16_e32 v65, v67, v65
	v_fmamk_f16 v47, v54, 0xbbc4, v39
	v_add_f16_e32 v36, v37, v36
	v_add_f16_e32 v37, v42, v41
	v_and_b32_e32 v12, 0xffff, v19
	v_add_f16_e32 v89, v89, v92
	v_sub_f16_e32 v81, v99, v81
	v_add_f16_e32 v31, v79, v31
	v_fmac_f16_e32 v83, 0xb5ac, v26
	v_add_f16_e32 v29, v32, v29
	v_fma_f16 v32, v28, 0x3b15, -v124
	v_add_f16_e32 v7, v126, v7
	v_fmac_f16_e32 v127, 0x3b15, v26
	v_add_f16_e32 v8, v10, v8
	v_fma_f16 v10, v28, 0xb9fd, -v62
	v_add_f16_e32 v6, v38, v6
	v_fmac_f16_e32 v46, 0xb9fd, v26
	v_fma_f16 v113, v30, 0xb5ac, -v107
	v_add_f16_e32 v47, v47, v65
	v_add_f16_e32 v34, v37, v34
	v_mul_u32_u24_e32 v12, 0x9c, v12
	v_lshlrev_b32_e32 v9, 2, v9
	v_add_f16_e32 v93, v93, v97
	v_add_f16_e32 v73, v81, v89
	;; [unrolled: 1-line block ×3, first 2 shown]
	v_fmac_f16_e32 v123, 0x2fb7, v30
	v_add_f16_e32 v29, v32, v29
	v_fma_f16 v32, v54, 0xb5ac, -v114
	v_add_f16_e32 v7, v127, v7
	v_fmac_f16_e32 v107, 0xb5ac, v30
	v_add_f16_e32 v8, v10, v8
	v_fma_f16 v10, v54, 0xbbc4, -v39
	v_add_f16_e32 v6, v46, v6
	v_fmac_f16_e32 v40, 0xbbc4, v30
	v_add_f16_e32 v106, v113, v111
	v_add3_u32 v9, 0, v12, v9
	v_pack_b32_f16 v12, v34, v23
	v_pack_b32_f16 v13, v36, v47
	v_add_f16_e32 v31, v123, v31
	v_pack_b32_f16 v19, v51, v69
	v_pack_b32_f16 v22, v73, v93
	v_add_f16_e32 v11, v32, v29
	v_add_f16_e32 v7, v107, v7
	;; [unrolled: 1-line block ×4, first 2 shown]
	ds_store_2addr_b32 v9, v12, v13 offset1:3
	ds_store_2addr_b32 v9, v19, v22 offset0:6 offset1:9
	v_pack_b32_f16 v10, v101, v108
	v_pack_b32_f16 v12, v106, v115
	;; [unrolled: 1-line block ×5, first 2 shown]
	v_perm_b32 v11, v15, v14, 0x5040100
	v_perm_b32 v22, v21, v20, 0x5040100
	;; [unrolled: 1-line block ×3, first 2 shown]
	v_pack_b32_f16 v6, v6, v8
	ds_store_2addr_b32 v9, v10, v12 offset0:12 offset1:15
	ds_store_2addr_b32 v9, v13, v19 offset0:18 offset1:21
	;; [unrolled: 1-line block ×4, first 2 shown]
	ds_store_b32 v9, v6 offset:144
.LBB0_21:
	s_or_b32 exec_lo, exec_lo, s4
	v_lshl_add_u32 v19, v18, 2, 0
	s_waitcnt lgkmcnt(0)
	s_barrier
	buffer_gl0_inv
	v_add_nc_u32_e32 v6, 0x300, v19
	v_add_nc_u32_e32 v10, 0xc00, v19
	;; [unrolled: 1-line block ×3, first 2 shown]
	ds_load_2addr_b32 v[8:9], v19 offset1:117
	ds_load_2addr_b32 v[6:7], v6 offset0:42 offset1:237
	ds_load_2addr_b32 v[12:13], v10 offset0:90 offset1:207
	;; [unrolled: 1-line block ×3, first 2 shown]
	ds_load_b32 v22, v19 offset:4368
	s_and_saveexec_b32 s1, s0
	s_cbranch_execz .LBB0_23
; %bb.22:
	ds_load_b32 v14, v19 offset:1404
	ds_load_b32 v16, v19 offset:4836
	;; [unrolled: 1-line block ×3, first 2 shown]
	s_waitcnt lgkmcnt(2)
	v_lshrrev_b32_e32 v15, 16, v14
	s_waitcnt lgkmcnt(1)
	v_lshrrev_b32_e32 v17, 16, v16
	;; [unrolled: 2-line block ×3, first 2 shown]
.LBB0_23:
	s_or_b32 exec_lo, exec_lo, s1
	v_mul_lo_u16 v0, 0xa5, v0
	v_add_nc_u16 v23, v18, 0x75
	v_add_nc_u32_e32 v26, 0xea, v18
	s_waitcnt lgkmcnt(3)
	v_lshrrev_b32_e32 v37, 16, v7
	s_waitcnt lgkmcnt(2)
	v_lshrrev_b32_e32 v38, 16, v12
	v_lshrrev_b16 v0, 8, v0
	v_and_b32_e32 v24, 0xff, v23
	v_and_b32_e32 v27, 0xffff, v26
	s_waitcnt lgkmcnt(1)
	v_lshrrev_b32_e32 v39, 16, v10
	v_lshrrev_b32_e32 v40, 16, v13
	v_sub_nc_u16 v25, v18, v0
	v_mul_lo_u16 v24, 0xa5, v24
	v_lshrrev_b32_e32 v41, 16, v11
	s_waitcnt lgkmcnt(0)
	v_lshrrev_b32_e32 v42, 16, v22
	v_lshrrev_b32_e32 v34, 16, v8
	v_lshrrev_b16 v25, 1, v25
	v_lshrrev_b16 v24, 8, v24
	v_lshrrev_b32_e32 v35, 16, v9
	v_lshrrev_b32_e32 v36, 16, v6
	s_delay_alu instid0(VALU_DEP_4) | instskip(NEXT) | instid1(VALU_DEP_4)
	v_and_b32_e32 v25, 0x7f, v25
	v_sub_nc_u16 v28, v23, v24
	s_delay_alu instid0(VALU_DEP_2) | instskip(SKIP_1) | instid1(VALU_DEP_3)
	v_add_nc_u16 v0, v25, v0
	v_mul_u32_u24_e32 v25, 0xa41b, v27
	v_lshrrev_b16 v27, 1, v28
	s_delay_alu instid0(VALU_DEP_3) | instskip(NEXT) | instid1(VALU_DEP_3)
	v_lshrrev_b16 v0, 5, v0
	v_lshrrev_b32_e32 v25, 16, v25
	s_delay_alu instid0(VALU_DEP_3) | instskip(NEXT) | instid1(VALU_DEP_3)
	v_and_b32_e32 v27, 0x7f, v27
	v_and_b32_e32 v0, 7, v0
	s_delay_alu instid0(VALU_DEP_3) | instskip(NEXT) | instid1(VALU_DEP_3)
	v_sub_nc_u16 v28, v26, v25
	v_add_nc_u16 v24, v27, v24
	s_delay_alu instid0(VALU_DEP_3) | instskip(NEXT) | instid1(VALU_DEP_3)
	v_mul_lo_u16 v27, v0, 39
	v_lshrrev_b16 v28, 1, v28
	s_delay_alu instid0(VALU_DEP_3) | instskip(SKIP_1) | instid1(VALU_DEP_4)
	v_lshrrev_b16 v24, 5, v24
	v_and_b32_e32 v0, 0xffff, v0
	v_sub_nc_u16 v27, v18, v27
	s_delay_alu instid0(VALU_DEP_4) | instskip(NEXT) | instid1(VALU_DEP_4)
	v_add_nc_u16 v25, v28, v25
	v_and_b32_e32 v29, 7, v24
	s_delay_alu instid0(VALU_DEP_4) | instskip(NEXT) | instid1(VALU_DEP_4)
	v_mul_u32_u24_e32 v0, 0x1d4, v0
	v_and_b32_e32 v30, 0xff, v27
	s_delay_alu instid0(VALU_DEP_4) | instskip(NEXT) | instid1(VALU_DEP_4)
	v_lshrrev_b16 v31, 5, v25
	v_mul_lo_u16 v24, v29, 39
	v_and_b32_e32 v29, 0xffff, v29
	s_delay_alu instid0(VALU_DEP_4) | instskip(NEXT) | instid1(VALU_DEP_4)
	v_lshlrev_b32_e32 v25, 3, v30
	v_mul_lo_u16 v27, v31, 39
	s_delay_alu instid0(VALU_DEP_4)
	v_sub_nc_u16 v28, v23, v24
	v_and_b32_e32 v31, 0xffff, v31
	v_lshlrev_b32_e32 v30, 2, v30
	global_load_b64 v[23:24], v25, s[8:9] offset:144
	v_sub_nc_u16 v25, v26, v27
	v_and_b32_e32 v32, 0xff, v28
	v_mul_u32_u24_e32 v31, 0x1d4, v31
	v_mul_u32_u24_e32 v29, 0x1d4, v29
	v_add3_u32 v0, 0, v0, v30
	v_and_b32_e32 v33, 0xffff, v25
	v_lshlrev_b32_e32 v25, 3, v32
	s_delay_alu instid0(VALU_DEP_2)
	v_lshlrev_b32_e32 v27, 3, v33
	v_lshlrev_b32_e32 v33, 2, v33
	s_clause 0x1
	global_load_b64 v[25:26], v25, s[8:9] offset:144
	global_load_b64 v[27:28], v27, s[8:9] offset:144
	s_waitcnt vmcnt(0)
	v_add3_u32 v30, 0, v31, v33
	v_lshlrev_b32_e32 v31, 2, v32
	s_barrier
	buffer_gl0_inv
	v_add3_u32 v29, 0, v29, v31
	v_lshrrev_b32_e32 v32, 16, v23
	v_lshrrev_b32_e32 v33, 16, v24
	s_delay_alu instid0(VALU_DEP_2) | instskip(SKIP_1) | instid1(VALU_DEP_3)
	v_mul_f16_e32 v43, v32, v37
	v_mul_f16_e32 v32, v32, v7
	v_mul_f16_e32 v44, v33, v38
	v_mul_f16_e32 v31, v33, v12
	s_delay_alu instid0(VALU_DEP_4) | instskip(NEXT) | instid1(VALU_DEP_4)
	v_fma_f16 v7, v23, v7, -v43
	v_fmac_f16_e32 v32, v23, v37
	s_delay_alu instid0(VALU_DEP_4) | instskip(NEXT) | instid1(VALU_DEP_4)
	v_fma_f16 v12, v24, v12, -v44
	v_fmac_f16_e32 v31, v24, v38
	v_lshrrev_b32_e32 v23, 16, v25
	v_lshrrev_b32_e32 v24, 16, v26
	;; [unrolled: 1-line block ×4, first 2 shown]
	v_add_f16_e32 v47, v7, v12
	v_mul_f16_e32 v38, v23, v39
	v_mul_f16_e32 v23, v23, v10
	;; [unrolled: 1-line block ×8, first 2 shown]
	v_sub_f16_e32 v48, v32, v31
	v_add_f16_e32 v49, v34, v32
	v_add_f16_e32 v32, v32, v31
	v_fma_f16 v10, v25, v10, -v38
	v_fmac_f16_e32 v23, v25, v39
	v_fma_f16 v13, v26, v13, -v43
	v_fmac_f16_e32 v24, v26, v40
	;; [unrolled: 2-line block ×4, first 2 shown]
	v_add_f16_e32 v46, v8, v7
	v_sub_f16_e32 v7, v7, v12
	v_fma_f16 v8, -0.5, v47, v8
	v_fmac_f16_e32 v34, -0.5, v32
	v_add_f16_e32 v25, v49, v31
	v_add_f16_e32 v28, v10, v13
	v_sub_f16_e32 v31, v23, v24
	v_add_f16_e32 v32, v35, v23
	v_add_f16_e32 v23, v23, v24
	;; [unrolled: 1-line block ×3, first 2 shown]
	v_sub_f16_e32 v40, v33, v37
	v_add_f16_e32 v41, v36, v33
	v_add_f16_e32 v33, v33, v37
	;; [unrolled: 1-line block ×3, first 2 shown]
	v_fmamk_f16 v26, v48, 0x3aee, v8
	v_fmamk_f16 v27, v7, 0xbaee, v34
	v_fmac_f16_e32 v34, 0x3aee, v7
	v_add_f16_e32 v7, v9, v10
	v_sub_f16_e32 v10, v10, v13
	v_fmac_f16_e32 v9, -0.5, v28
	v_fmac_f16_e32 v35, -0.5, v23
	v_add_f16_e32 v38, v6, v11
	v_sub_f16_e32 v11, v11, v22
	v_fmac_f16_e32 v6, -0.5, v39
	v_fmac_f16_e32 v36, -0.5, v33
	v_fmac_f16_e32 v8, 0xbaee, v48
	v_pack_b32_f16 v12, v12, v25
	v_add_f16_e32 v7, v7, v13
	v_add_f16_e32 v13, v32, v24
	v_pack_b32_f16 v24, v26, v27
	v_fmamk_f16 v25, v31, 0x3aee, v9
	v_fmamk_f16 v26, v10, 0xbaee, v35
	v_fmac_f16_e32 v9, 0xbaee, v31
	v_fmac_f16_e32 v35, 0x3aee, v10
	v_add_f16_e32 v22, v38, v22
	v_add_f16_e32 v23, v41, v37
	v_fmamk_f16 v10, v40, 0x3aee, v6
	v_fmamk_f16 v27, v11, 0xbaee, v36
	v_fmac_f16_e32 v6, 0xbaee, v40
	v_fmac_f16_e32 v36, 0x3aee, v11
	v_pack_b32_f16 v8, v8, v34
	ds_store_2addr_b32 v0, v12, v24 offset1:39
	v_pack_b32_f16 v7, v7, v13
	v_pack_b32_f16 v12, v25, v26
	;; [unrolled: 1-line block ×6, first 2 shown]
	ds_store_b32 v0, v8 offset:312
	ds_store_2addr_b32 v29, v7, v12 offset1:39
	ds_store_b32 v29, v9 offset:312
	ds_store_2addr_b32 v30, v11, v10 offset1:39
	ds_store_b32 v30, v6 offset:312
	s_and_saveexec_b32 s1, s0
	s_cbranch_execz .LBB0_25
; %bb.24:
	v_add_nc_u32_e32 v0, 0x15f, v18
	s_delay_alu instid0(VALU_DEP_1) | instskip(NEXT) | instid1(VALU_DEP_1)
	v_and_b32_e32 v6, 0xffff, v0
	v_mul_u32_u24_e32 v6, 0xa41b, v6
	s_delay_alu instid0(VALU_DEP_1) | instskip(NEXT) | instid1(VALU_DEP_1)
	v_lshrrev_b32_e32 v6, 16, v6
	v_sub_nc_u16 v7, v0, v6
	s_delay_alu instid0(VALU_DEP_1) | instskip(NEXT) | instid1(VALU_DEP_1)
	v_lshrrev_b16 v7, 1, v7
	v_add_nc_u16 v6, v7, v6
	s_delay_alu instid0(VALU_DEP_1) | instskip(NEXT) | instid1(VALU_DEP_1)
	v_lshrrev_b16 v8, 5, v6
	v_mul_lo_u16 v6, v8, 39
	v_mul_lo_u16 v8, 0x75, v8
	s_delay_alu instid0(VALU_DEP_2) | instskip(NEXT) | instid1(VALU_DEP_2)
	v_sub_nc_u16 v0, v0, v6
	v_and_b32_e32 v8, 0xffff, v8
	s_delay_alu instid0(VALU_DEP_2) | instskip(NEXT) | instid1(VALU_DEP_1)
	v_and_b32_e32 v0, 0xffff, v0
	v_lshlrev_b32_e32 v6, 3, v0
	v_lshlrev_b32_e32 v0, 2, v0
	global_load_b64 v[6:7], v6, s[8:9] offset:144
	s_waitcnt vmcnt(0)
	v_lshrrev_b32_e32 v9, 16, v6
	v_lshrrev_b32_e32 v10, 16, v7
	s_delay_alu instid0(VALU_DEP_2) | instskip(SKIP_1) | instid1(VALU_DEP_3)
	v_mul_f16_e32 v11, v21, v9
	v_mul_f16_e32 v9, v20, v9
	;; [unrolled: 1-line block ×4, first 2 shown]
	s_delay_alu instid0(VALU_DEP_4) | instskip(NEXT) | instid1(VALU_DEP_4)
	v_fma_f16 v11, v20, v6, -v11
	v_fmac_f16_e32 v9, v21, v6
	s_delay_alu instid0(VALU_DEP_4) | instskip(NEXT) | instid1(VALU_DEP_4)
	v_fmac_f16_e32 v12, v17, v7
	v_fma_f16 v6, v16, v7, -v10
	v_lshlrev_b32_e32 v7, 2, v8
	s_delay_alu instid0(VALU_DEP_4) | instskip(NEXT) | instid1(VALU_DEP_4)
	v_add_f16_e32 v16, v15, v9
	v_add_f16_e32 v8, v9, v12
	s_delay_alu instid0(VALU_DEP_4)
	v_add_f16_e32 v13, v11, v6
	v_sub_f16_e32 v10, v11, v6
	v_add_f16_e32 v11, v14, v11
	v_sub_f16_e32 v9, v9, v12
	v_fma_f16 v8, -0.5, v8, v15
	v_fma_f16 v13, -0.5, v13, v14
	v_add_f16_e32 v12, v16, v12
	v_add_f16_e32 v6, v11, v6
	v_add3_u32 v0, 0, v0, v7
	v_fmamk_f16 v11, v10, 0x3aee, v8
	v_fmac_f16_e32 v8, 0xbaee, v10
	v_fmamk_f16 v10, v9, 0xbaee, v13
	v_fmac_f16_e32 v13, 0x3aee, v9
	v_pack_b32_f16 v6, v6, v12
	s_delay_alu instid0(VALU_DEP_2) | instskip(NEXT) | instid1(VALU_DEP_4)
	v_pack_b32_f16 v7, v13, v8
	v_pack_b32_f16 v8, v10, v11
	ds_store_2addr_b32 v0, v6, v7 offset1:39
	ds_store_b32 v0, v8 offset:312
.LBB0_25:
	s_or_b32 exec_lo, exec_lo, s1
	s_waitcnt lgkmcnt(0)
	s_barrier
	buffer_gl0_inv
	s_and_saveexec_b32 s0, vcc_lo
	s_cbranch_execz .LBB0_27
; %bb.26:
	v_mul_u32_u24_e32 v0, 10, v18
	v_mul_lo_u32 v20, s2, v5
	v_mad_u64_u32 v[17:18], null, s2, v4, 0
	v_add_nc_u32_e32 v21, 0x200, v19
	s_delay_alu instid0(VALU_DEP_4)
	v_lshlrev_b32_e32 v0, 2, v0
	v_add_nc_u32_e32 v23, 0xa00, v19
	v_add_nc_u32_e32 v25, 0x600, v19
	s_clause 0x2
	global_load_b64 v[15:16], v0, s[8:9] offset:488
	global_load_b128 v[7:10], v0, s[8:9] offset:456
	global_load_b128 v[11:14], v0, s[8:9] offset:472
	v_mul_lo_u32 v0, s3, v4
	ds_load_b32 v27, v19 offset:4680
	ds_load_2addr_b32 v[5:6], v19 offset1:117
	v_add_nc_u32_e32 v4, 0xe00, v19
	v_add3_u32 v18, v18, v20, v0
	ds_load_2addr_b32 v[19:20], v4 offset0:40 offset1:157
	ds_load_2addr_b32 v[21:22], v21 offset0:106 offset1:223
	v_mov_b32_e32 v4, 0
	ds_load_2addr_b32 v[23:24], v23 offset0:62 offset1:179
	v_lshlrev_b64 v[0:1], 2, v[1:2]
	v_lshlrev_b64 v[17:18], 2, v[17:18]
	ds_load_2addr_b32 v[25:26], v25 offset0:84 offset1:201
	v_lshlrev_b64 v[2:3], 2, v[3:4]
	v_add_co_u32 v4, vcc_lo, s6, v17
	v_add_co_ci_u32_e32 v17, vcc_lo, s7, v18, vcc_lo
	s_waitcnt lgkmcnt(5)
	v_lshrrev_b32_e32 v18, 16, v27
	s_delay_alu instid0(VALU_DEP_3) | instskip(NEXT) | instid1(VALU_DEP_3)
	v_add_co_u32 v0, vcc_lo, v4, v0
	v_add_co_ci_u32_e32 v1, vcc_lo, v17, v1, vcc_lo
	s_waitcnt lgkmcnt(4)
	v_lshrrev_b32_e32 v28, 16, v6
	s_delay_alu instid0(VALU_DEP_3)
	v_add_co_u32 v0, vcc_lo, v0, v2
	s_waitcnt lgkmcnt(3)
	v_lshrrev_b32_e32 v4, 16, v20
	v_add_co_ci_u32_e32 v1, vcc_lo, v1, v3, vcc_lo
	s_waitcnt lgkmcnt(2)
	v_lshrrev_b32_e32 v17, 16, v21
	v_lshrrev_b32_e32 v31, 16, v22
	s_waitcnt lgkmcnt(1)
	v_lshrrev_b32_e32 v32, 16, v24
	v_lshrrev_b32_e32 v29, 16, v5
	;; [unrolled: 1-line block ×3, first 2 shown]
	s_waitcnt lgkmcnt(0)
	v_lshrrev_b32_e32 v35, 16, v26
	v_lshrrev_b32_e32 v33, 16, v25
	;; [unrolled: 1-line block ×3, first 2 shown]
	s_waitcnt vmcnt(2)
	v_lshrrev_b32_e32 v3, 16, v16
	v_mul_f16_e32 v36, v16, v18
	s_waitcnt vmcnt(1)
	v_lshrrev_b32_e32 v37, 16, v7
	v_lshrrev_b32_e32 v2, 16, v15
	;; [unrolled: 1-line block ×4, first 2 shown]
	v_mul_f16_e32 v41, v7, v28
	v_mul_f16_e32 v42, v15, v4
	s_waitcnt vmcnt(0)
	v_lshrrev_b32_e32 v46, 16, v13
	v_fmac_f16_e32 v36, v3, v27
	v_mul_f16_e32 v28, v37, v28
	v_mul_f16_e32 v3, v3, v18
	;; [unrolled: 1-line block ×3, first 2 shown]
	v_lshrrev_b32_e32 v44, 16, v11
	v_lshrrev_b32_e32 v47, 16, v14
	v_mul_f16_e32 v49, v9, v31
	v_mul_f16_e32 v50, v13, v32
	v_fmac_f16_e32 v41, v37, v6
	v_fmac_f16_e32 v42, v2, v20
	v_mul_f16_e32 v17, v38, v17
	v_mul_f16_e32 v2, v2, v4
	;; [unrolled: 1-line block ×4, first 2 shown]
	v_fma_f16 v6, v7, v6, -v28
	v_fma_f16 v3, v27, v16, -v3
	v_lshrrev_b32_e32 v40, 16, v10
	v_lshrrev_b32_e32 v45, 16, v12
	v_mul_f16_e32 v53, v11, v35
	v_fmac_f16_e32 v43, v38, v21
	v_fmac_f16_e32 v49, v39, v22
	v_mul_f16_e32 v18, v47, v30
	v_fmac_f16_e32 v50, v46, v24
	v_mul_f16_e32 v32, v44, v35
	v_fma_f16 v8, v8, v21, -v17
	v_fma_f16 v4, v9, v22, -v4
	;; [unrolled: 1-line block ×3, first 2 shown]
	v_add_f16_e32 v22, v41, v29
	v_sub_f16_e32 v24, v6, v3
	v_add_f16_e32 v35, v3, v6
	v_add_f16_e32 v6, v6, v5
	v_mul_f16_e32 v48, v14, v30
	v_mul_f16_e32 v51, v10, v33
	;; [unrolled: 1-line block ×5, first 2 shown]
	v_fma_f16 v2, v20, v15, -v2
	v_fma_f16 v9, v19, v14, -v18
	v_add_f16_e32 v22, v22, v43
	v_add_f16_e32 v6, v6, v8
	v_fmac_f16_e32 v48, v47, v19
	v_fmac_f16_e32 v51, v40, v25
	;; [unrolled: 1-line block ×4, first 2 shown]
	v_add_f16_e32 v34, v36, v41
	v_sub_f16_e32 v17, v41, v36
	v_fma_f16 v10, v10, v25, -v30
	v_fma_f16 v11, v11, v26, -v32
	;; [unrolled: 1-line block ×3, first 2 shown]
	v_sub_f16_e32 v26, v8, v2
	v_sub_f16_e32 v28, v4, v9
	v_add_f16_e32 v38, v2, v8
	v_add_f16_e32 v40, v9, v4
	;; [unrolled: 1-line block ×8, first 2 shown]
	v_sub_f16_e32 v18, v43, v42
	v_mul_f16_e32 v23, 0xbbad, v34
	v_mul_f16_e32 v37, 0xb482, v17
	;; [unrolled: 1-line block ×4, first 2 shown]
	v_sub_f16_e32 v19, v49, v48
	v_sub_f16_e32 v20, v51, v50
	;; [unrolled: 1-line block ×5, first 2 shown]
	v_mul_f16_e32 v64, 0xbb47, v17
	v_add_f16_e32 v6, v8, v51
	v_add_f16_e32 v4, v4, v10
	v_mul_f16_e32 v25, 0x3abb, v7
	v_mul_f16_e32 v27, 0xb93d, v15
	;; [unrolled: 1-line block ×10, first 2 shown]
	v_fmamk_f16 v43, v24, 0x3482, v23
	v_fmamk_f16 v73, v35, 0xbbad, v37
	v_fmac_f16_e32 v23, 0xb482, v24
	v_fma_f16 v37, v35, 0xbbad, -v37
	v_mul_f16_e32 v78, 0xba0c, v24
	v_fma_f16 v83, v35, 0xb93d, -v54
	v_mul_f16_e32 v88, 0xbbeb, v24
	;; [unrolled: 2-line block ×3, first 2 shown]
	v_mul_f16_e32 v24, 0xb853, v24
	v_mul_f16_e32 v41, 0xba0c, v19
	v_add_f16_e32 v44, v13, v10
	v_mul_f16_e32 v45, 0x3b47, v20
	v_add_f16_e32 v46, v12, v11
	v_mul_f16_e32 v47, 0xbbeb, v21
	v_mul_f16_e32 v56, 0xb853, v19
	;; [unrolled: 1-line block ×19, first 2 shown]
	v_fma_f16 v103, v35, 0x36a6, -v64
	v_add_f16_e32 v6, v6, v53
	v_add_f16_e32 v4, v4, v11
	v_fmamk_f16 v69, v26, 0xb853, v25
	v_fmamk_f16 v70, v28, 0x3a0c, v27
	;; [unrolled: 1-line block ×5, first 2 shown]
	v_fmac_f16_e32 v25, 0x3853, v26
	v_fmac_f16_e32 v27, 0xba0c, v28
	;; [unrolled: 1-line block ×4, first 2 shown]
	v_fma_f16 v39, v38, 0x3abb, -v39
	v_fma_f16 v84, v38, 0xb08e, -v55
	v_mul_f16_e32 v90, 0x3b47, v28
	v_mul_f16_e32 v92, 0xba0c, v33
	v_fma_f16 v94, v38, 0xbbad, -v60
	v_mul_f16_e32 v99, 0xba0c, v26
	v_mul_f16_e32 v100, 0x3482, v28
	;; [unrolled: 1-line block ×4, first 2 shown]
	v_fma_f16 v104, v38, 0xb93d, -v65
	v_mul_f16_e32 v26, 0xbb47, v26
	v_mul_f16_e32 v28, 0xbbeb, v28
	;; [unrolled: 1-line block ×4, first 2 shown]
	v_fma_f16 v108, v35, 0x3abb, -v17
	v_fma_f16 v109, v38, 0x36a6, -v18
	v_fmac_f16_e32 v54, 0xb93d, v35
	v_fmac_f16_e32 v55, 0xb08e, v38
	;; [unrolled: 1-line block ×8, first 2 shown]
	v_add_f16_e32 v22, v43, v29
	v_add_f16_e32 v35, v73, v5
	;; [unrolled: 1-line block ×4, first 2 shown]
	v_fmamk_f16 v38, v34, 0xb93d, v78
	v_add_f16_e32 v49, v83, v5
	v_fmamk_f16 v73, v34, 0xb08e, v88
	v_add_f16_e32 v93, v93, v5
	v_fmamk_f16 v116, v34, 0x36a6, v98
	v_fmamk_f16 v121, v34, 0x3abb, v24
	;; [unrolled: 1-line block ×5, first 2 shown]
	v_fma_f16 v41, v40, 0xb93d, -v41
	v_fma_f16 v45, v44, 0x36a6, -v45
	;; [unrolled: 1-line block ×15, first 2 shown]
	v_fmac_f16_e32 v56, 0x3abb, v40
	v_fmac_f16_e32 v57, 0xbbad, v44
	;; [unrolled: 1-line block ×12, first 2 shown]
	v_fmamk_f16 v40, v7, 0xb08e, v79
	v_fmamk_f16 v43, v15, 0x3abb, v80
	;; [unrolled: 1-line block ×6, first 2 shown]
	v_add_f16_e32 v103, v103, v5
	v_fma_f16 v8, v34, 0xb93d, -v78
	v_fma_f16 v51, v7, 0xb08e, -v79
	;; [unrolled: 1-line block ×10, first 2 shown]
	v_add_f16_e32 v6, v52, v6
	v_add_f16_e32 v4, v12, v4
	v_fmamk_f16 v113, v15, 0x36a6, v90
	v_fmamk_f16 v115, v16, 0xb93d, v92
	v_fmamk_f16 v117, v7, 0xb93d, v99
	v_fmamk_f16 v118, v15, 0xbbad, v100
	v_fmamk_f16 v119, v14, 0xb08e, v101
	v_fmamk_f16 v120, v16, 0x3abb, v102
	v_fmamk_f16 v122, v7, 0x36a6, v26
	v_fmamk_f16 v123, v15, 0xb08e, v28
	v_fmamk_f16 v124, v14, 0xb93d, v31
	v_fmamk_f16 v125, v16, 0xbbad, v33
	v_add_f16_e32 v108, v108, v5
	v_add_f16_e32 v54, v54, v5
	v_fma_f16 v88, v15, 0x36a6, -v90
	v_fma_f16 v90, v16, 0xb93d, -v92
	v_add_f16_e32 v59, v59, v5
	v_fma_f16 v92, v7, 0xb93d, -v99
	v_fma_f16 v98, v15, 0xbbad, -v100
	;; [unrolled: 1-line block ×4, first 2 shown]
	v_add_f16_e32 v64, v64, v5
	v_fma_f16 v7, v7, 0x36a6, -v26
	v_fma_f16 v15, v15, 0xb08e, -v28
	;; [unrolled: 1-line block ×4, first 2 shown]
	v_add_f16_e32 v5, v17, v5
	v_add_f16_e32 v17, v22, v69
	;; [unrolled: 1-line block ×97, first 2 shown]
	v_pack_b32_f16 v6, v2, v6
	v_pack_b32_f16 v4, v17, v15
	;; [unrolled: 1-line block ×5, first 2 shown]
	v_add_co_u32 v2, vcc_lo, 0x1000, v0
	v_pack_b32_f16 v14, v22, v14
	v_pack_b32_f16 v13, v19, v18
	;; [unrolled: 1-line block ×5, first 2 shown]
	v_add_co_ci_u32_e32 v3, vcc_lo, 0, v1, vcc_lo
	v_pack_b32_f16 v5, v5, v7
	s_clause 0xa
	global_store_b32 v[0:1], v6, off
	global_store_b32 v[0:1], v15, off offset:468
	global_store_b32 v[0:1], v16, off offset:936
	;; [unrolled: 1-line block ×10, first 2 shown]
.LBB0_27:
	s_nop 0
	s_sendmsg sendmsg(MSG_DEALLOC_VGPRS)
	s_endpgm
	.section	.rodata,"a",@progbits
	.p2align	6, 0x0
	.amdhsa_kernel fft_rtc_fwd_len1287_factors_3_13_3_11_wgs_117_tpt_117_half_op_CI_CI_unitstride_sbrr_dirReg
		.amdhsa_group_segment_fixed_size 0
		.amdhsa_private_segment_fixed_size 0
		.amdhsa_kernarg_size 104
		.amdhsa_user_sgpr_count 15
		.amdhsa_user_sgpr_dispatch_ptr 0
		.amdhsa_user_sgpr_queue_ptr 0
		.amdhsa_user_sgpr_kernarg_segment_ptr 1
		.amdhsa_user_sgpr_dispatch_id 0
		.amdhsa_user_sgpr_private_segment_size 0
		.amdhsa_wavefront_size32 1
		.amdhsa_uses_dynamic_stack 0
		.amdhsa_enable_private_segment 0
		.amdhsa_system_sgpr_workgroup_id_x 1
		.amdhsa_system_sgpr_workgroup_id_y 0
		.amdhsa_system_sgpr_workgroup_id_z 0
		.amdhsa_system_sgpr_workgroup_info 0
		.amdhsa_system_vgpr_workitem_id 0
		.amdhsa_next_free_vgpr 131
		.amdhsa_next_free_sgpr 27
		.amdhsa_reserve_vcc 1
		.amdhsa_float_round_mode_32 0
		.amdhsa_float_round_mode_16_64 0
		.amdhsa_float_denorm_mode_32 3
		.amdhsa_float_denorm_mode_16_64 3
		.amdhsa_dx10_clamp 1
		.amdhsa_ieee_mode 1
		.amdhsa_fp16_overflow 0
		.amdhsa_workgroup_processor_mode 1
		.amdhsa_memory_ordered 1
		.amdhsa_forward_progress 0
		.amdhsa_shared_vgpr_count 0
		.amdhsa_exception_fp_ieee_invalid_op 0
		.amdhsa_exception_fp_denorm_src 0
		.amdhsa_exception_fp_ieee_div_zero 0
		.amdhsa_exception_fp_ieee_overflow 0
		.amdhsa_exception_fp_ieee_underflow 0
		.amdhsa_exception_fp_ieee_inexact 0
		.amdhsa_exception_int_div_zero 0
	.end_amdhsa_kernel
	.text
.Lfunc_end0:
	.size	fft_rtc_fwd_len1287_factors_3_13_3_11_wgs_117_tpt_117_half_op_CI_CI_unitstride_sbrr_dirReg, .Lfunc_end0-fft_rtc_fwd_len1287_factors_3_13_3_11_wgs_117_tpt_117_half_op_CI_CI_unitstride_sbrr_dirReg
                                        ; -- End function
	.section	.AMDGPU.csdata,"",@progbits
; Kernel info:
; codeLenInByte = 10240
; NumSgprs: 29
; NumVgprs: 131
; ScratchSize: 0
; MemoryBound: 0
; FloatMode: 240
; IeeeMode: 1
; LDSByteSize: 0 bytes/workgroup (compile time only)
; SGPRBlocks: 3
; VGPRBlocks: 16
; NumSGPRsForWavesPerEU: 29
; NumVGPRsForWavesPerEU: 131
; Occupancy: 10
; WaveLimiterHint : 1
; COMPUTE_PGM_RSRC2:SCRATCH_EN: 0
; COMPUTE_PGM_RSRC2:USER_SGPR: 15
; COMPUTE_PGM_RSRC2:TRAP_HANDLER: 0
; COMPUTE_PGM_RSRC2:TGID_X_EN: 1
; COMPUTE_PGM_RSRC2:TGID_Y_EN: 0
; COMPUTE_PGM_RSRC2:TGID_Z_EN: 0
; COMPUTE_PGM_RSRC2:TIDIG_COMP_CNT: 0
	.text
	.p2alignl 7, 3214868480
	.fill 96, 4, 3214868480
	.type	__hip_cuid_bbe5ee618d5ccada,@object ; @__hip_cuid_bbe5ee618d5ccada
	.section	.bss,"aw",@nobits
	.globl	__hip_cuid_bbe5ee618d5ccada
__hip_cuid_bbe5ee618d5ccada:
	.byte	0                               ; 0x0
	.size	__hip_cuid_bbe5ee618d5ccada, 1

	.ident	"AMD clang version 19.0.0git (https://github.com/RadeonOpenCompute/llvm-project roc-6.4.0 25133 c7fe45cf4b819c5991fe208aaa96edf142730f1d)"
	.section	".note.GNU-stack","",@progbits
	.addrsig
	.addrsig_sym __hip_cuid_bbe5ee618d5ccada
	.amdgpu_metadata
---
amdhsa.kernels:
  - .args:
      - .actual_access:  read_only
        .address_space:  global
        .offset:         0
        .size:           8
        .value_kind:     global_buffer
      - .offset:         8
        .size:           8
        .value_kind:     by_value
      - .actual_access:  read_only
        .address_space:  global
        .offset:         16
        .size:           8
        .value_kind:     global_buffer
      - .actual_access:  read_only
        .address_space:  global
        .offset:         24
        .size:           8
        .value_kind:     global_buffer
      - .actual_access:  read_only
        .address_space:  global
        .offset:         32
        .size:           8
        .value_kind:     global_buffer
      - .offset:         40
        .size:           8
        .value_kind:     by_value
      - .actual_access:  read_only
        .address_space:  global
        .offset:         48
        .size:           8
        .value_kind:     global_buffer
      - .actual_access:  read_only
        .address_space:  global
        .offset:         56
        .size:           8
        .value_kind:     global_buffer
      - .offset:         64
        .size:           4
        .value_kind:     by_value
      - .actual_access:  read_only
        .address_space:  global
        .offset:         72
        .size:           8
        .value_kind:     global_buffer
      - .actual_access:  read_only
        .address_space:  global
        .offset:         80
        .size:           8
        .value_kind:     global_buffer
      - .actual_access:  read_only
        .address_space:  global
        .offset:         88
        .size:           8
        .value_kind:     global_buffer
      - .actual_access:  write_only
        .address_space:  global
        .offset:         96
        .size:           8
        .value_kind:     global_buffer
    .group_segment_fixed_size: 0
    .kernarg_segment_align: 8
    .kernarg_segment_size: 104
    .language:       OpenCL C
    .language_version:
      - 2
      - 0
    .max_flat_workgroup_size: 117
    .name:           fft_rtc_fwd_len1287_factors_3_13_3_11_wgs_117_tpt_117_half_op_CI_CI_unitstride_sbrr_dirReg
    .private_segment_fixed_size: 0
    .sgpr_count:     29
    .sgpr_spill_count: 0
    .symbol:         fft_rtc_fwd_len1287_factors_3_13_3_11_wgs_117_tpt_117_half_op_CI_CI_unitstride_sbrr_dirReg.kd
    .uniform_work_group_size: 1
    .uses_dynamic_stack: false
    .vgpr_count:     131
    .vgpr_spill_count: 0
    .wavefront_size: 32
    .workgroup_processor_mode: 1
amdhsa.target:   amdgcn-amd-amdhsa--gfx1100
amdhsa.version:
  - 1
  - 2
...

	.end_amdgpu_metadata
